;; amdgpu-corpus repo=ROCm/rocFFT kind=compiled arch=gfx906 opt=O3
	.text
	.amdgcn_target "amdgcn-amd-amdhsa--gfx906"
	.amdhsa_code_object_version 6
	.protected	fft_rtc_fwd_len1225_factors_5_5_7_7_wgs_175_tpt_175_halfLds_sp_op_CI_CI_sbrr_dirReg ; -- Begin function fft_rtc_fwd_len1225_factors_5_5_7_7_wgs_175_tpt_175_halfLds_sp_op_CI_CI_sbrr_dirReg
	.globl	fft_rtc_fwd_len1225_factors_5_5_7_7_wgs_175_tpt_175_halfLds_sp_op_CI_CI_sbrr_dirReg
	.p2align	8
	.type	fft_rtc_fwd_len1225_factors_5_5_7_7_wgs_175_tpt_175_halfLds_sp_op_CI_CI_sbrr_dirReg,@function
fft_rtc_fwd_len1225_factors_5_5_7_7_wgs_175_tpt_175_halfLds_sp_op_CI_CI_sbrr_dirReg: ; @fft_rtc_fwd_len1225_factors_5_5_7_7_wgs_175_tpt_175_halfLds_sp_op_CI_CI_sbrr_dirReg
; %bb.0:
	s_load_dwordx4 s[16:19], s[4:5], 0x18
	s_load_dwordx4 s[12:15], s[4:5], 0x0
	;; [unrolled: 1-line block ×3, first 2 shown]
	v_mul_u32_u24_e32 v1, 0x177, v0
	v_mov_b32_e32 v5, 0
	s_waitcnt lgkmcnt(0)
	s_load_dwordx2 s[20:21], s[16:17], 0x0
	s_load_dwordx2 s[2:3], s[18:19], 0x0
	v_cmp_lt_u64_e64 s[0:1], s[14:15], 2
	v_mov_b32_e32 v7, 0
	v_add_u32_sdwa v9, s6, v1 dst_sel:DWORD dst_unused:UNUSED_PAD src0_sel:DWORD src1_sel:WORD_1
	v_mov_b32_e32 v10, v5
	s_and_b64 vcc, exec, s[0:1]
	v_mov_b32_e32 v8, 0
	s_cbranch_vccnz .LBB0_8
; %bb.1:
	s_load_dwordx2 s[0:1], s[4:5], 0x10
	s_add_u32 s6, s18, 8
	s_addc_u32 s7, s19, 0
	s_add_u32 s22, s16, 8
	s_addc_u32 s23, s17, 0
	v_mov_b32_e32 v7, 0
	s_waitcnt lgkmcnt(0)
	s_add_u32 s24, s0, 8
	v_mov_b32_e32 v8, 0
	v_mov_b32_e32 v1, v7
	s_addc_u32 s25, s1, 0
	s_mov_b64 s[26:27], 1
	v_mov_b32_e32 v2, v8
.LBB0_2:                                ; =>This Inner Loop Header: Depth=1
	s_load_dwordx2 s[28:29], s[24:25], 0x0
                                        ; implicit-def: $vgpr3_vgpr4
	s_waitcnt lgkmcnt(0)
	v_or_b32_e32 v6, s29, v10
	v_cmp_ne_u64_e32 vcc, 0, v[5:6]
	s_and_saveexec_b64 s[0:1], vcc
	s_xor_b64 s[30:31], exec, s[0:1]
	s_cbranch_execz .LBB0_4
; %bb.3:                                ;   in Loop: Header=BB0_2 Depth=1
	v_cvt_f32_u32_e32 v3, s28
	v_cvt_f32_u32_e32 v4, s29
	s_sub_u32 s0, 0, s28
	s_subb_u32 s1, 0, s29
	v_mac_f32_e32 v3, 0x4f800000, v4
	v_rcp_f32_e32 v3, v3
	v_mul_f32_e32 v3, 0x5f7ffffc, v3
	v_mul_f32_e32 v4, 0x2f800000, v3
	v_trunc_f32_e32 v4, v4
	v_mac_f32_e32 v3, 0xcf800000, v4
	v_cvt_u32_f32_e32 v4, v4
	v_cvt_u32_f32_e32 v3, v3
	v_mul_lo_u32 v6, s0, v4
	v_mul_hi_u32 v11, s0, v3
	v_mul_lo_u32 v13, s1, v3
	v_mul_lo_u32 v12, s0, v3
	v_add_u32_e32 v6, v11, v6
	v_add_u32_e32 v6, v6, v13
	v_mul_hi_u32 v11, v3, v12
	v_mul_lo_u32 v13, v3, v6
	v_mul_hi_u32 v15, v3, v6
	v_mul_hi_u32 v14, v4, v12
	v_mul_lo_u32 v12, v4, v12
	v_mul_hi_u32 v16, v4, v6
	v_add_co_u32_e32 v11, vcc, v11, v13
	v_addc_co_u32_e32 v13, vcc, 0, v15, vcc
	v_mul_lo_u32 v6, v4, v6
	v_add_co_u32_e32 v11, vcc, v11, v12
	v_addc_co_u32_e32 v11, vcc, v13, v14, vcc
	v_addc_co_u32_e32 v12, vcc, 0, v16, vcc
	v_add_co_u32_e32 v6, vcc, v11, v6
	v_addc_co_u32_e32 v11, vcc, 0, v12, vcc
	v_add_co_u32_e32 v3, vcc, v3, v6
	v_addc_co_u32_e32 v4, vcc, v4, v11, vcc
	v_mul_lo_u32 v6, s0, v4
	v_mul_hi_u32 v11, s0, v3
	v_mul_lo_u32 v12, s1, v3
	v_mul_lo_u32 v13, s0, v3
	v_add_u32_e32 v6, v11, v6
	v_add_u32_e32 v6, v6, v12
	v_mul_lo_u32 v14, v3, v6
	v_mul_hi_u32 v15, v3, v13
	v_mul_hi_u32 v16, v3, v6
	;; [unrolled: 1-line block ×3, first 2 shown]
	v_mul_lo_u32 v13, v4, v13
	v_mul_hi_u32 v11, v4, v6
	v_add_co_u32_e32 v14, vcc, v15, v14
	v_addc_co_u32_e32 v15, vcc, 0, v16, vcc
	v_mul_lo_u32 v6, v4, v6
	v_add_co_u32_e32 v13, vcc, v14, v13
	v_addc_co_u32_e32 v12, vcc, v15, v12, vcc
	v_addc_co_u32_e32 v11, vcc, 0, v11, vcc
	v_add_co_u32_e32 v6, vcc, v12, v6
	v_addc_co_u32_e32 v11, vcc, 0, v11, vcc
	v_add_co_u32_e32 v6, vcc, v3, v6
	v_addc_co_u32_e32 v11, vcc, v4, v11, vcc
	v_mad_u64_u32 v[3:4], s[0:1], v9, v11, 0
	v_mul_hi_u32 v12, v9, v6
	v_add_co_u32_e32 v13, vcc, v12, v3
	v_addc_co_u32_e32 v14, vcc, 0, v4, vcc
	v_mad_u64_u32 v[3:4], s[0:1], v10, v6, 0
	v_mad_u64_u32 v[11:12], s[0:1], v10, v11, 0
	v_add_co_u32_e32 v3, vcc, v13, v3
	v_addc_co_u32_e32 v3, vcc, v14, v4, vcc
	v_addc_co_u32_e32 v4, vcc, 0, v12, vcc
	v_add_co_u32_e32 v6, vcc, v3, v11
	v_addc_co_u32_e32 v11, vcc, 0, v4, vcc
	v_mul_lo_u32 v12, s29, v6
	v_mul_lo_u32 v13, s28, v11
	v_mad_u64_u32 v[3:4], s[0:1], s28, v6, 0
	v_add3_u32 v4, v4, v13, v12
	v_sub_u32_e32 v12, v10, v4
	v_mov_b32_e32 v13, s29
	v_sub_co_u32_e32 v3, vcc, v9, v3
	v_subb_co_u32_e64 v12, s[0:1], v12, v13, vcc
	v_subrev_co_u32_e64 v13, s[0:1], s28, v3
	v_subbrev_co_u32_e64 v12, s[0:1], 0, v12, s[0:1]
	v_cmp_le_u32_e64 s[0:1], s29, v12
	v_cndmask_b32_e64 v14, 0, -1, s[0:1]
	v_cmp_le_u32_e64 s[0:1], s28, v13
	v_cndmask_b32_e64 v13, 0, -1, s[0:1]
	v_cmp_eq_u32_e64 s[0:1], s29, v12
	v_cndmask_b32_e64 v12, v14, v13, s[0:1]
	v_add_co_u32_e64 v13, s[0:1], 2, v6
	v_addc_co_u32_e64 v14, s[0:1], 0, v11, s[0:1]
	v_add_co_u32_e64 v15, s[0:1], 1, v6
	v_addc_co_u32_e64 v16, s[0:1], 0, v11, s[0:1]
	v_subb_co_u32_e32 v4, vcc, v10, v4, vcc
	v_cmp_ne_u32_e64 s[0:1], 0, v12
	v_cmp_le_u32_e32 vcc, s29, v4
	v_cndmask_b32_e64 v12, v16, v14, s[0:1]
	v_cndmask_b32_e64 v14, 0, -1, vcc
	v_cmp_le_u32_e32 vcc, s28, v3
	v_cndmask_b32_e64 v3, 0, -1, vcc
	v_cmp_eq_u32_e32 vcc, s29, v4
	v_cndmask_b32_e32 v3, v14, v3, vcc
	v_cmp_ne_u32_e32 vcc, 0, v3
	v_cndmask_b32_e64 v3, v15, v13, s[0:1]
	v_cndmask_b32_e32 v4, v11, v12, vcc
	v_cndmask_b32_e32 v3, v6, v3, vcc
.LBB0_4:                                ;   in Loop: Header=BB0_2 Depth=1
	s_andn2_saveexec_b64 s[0:1], s[30:31]
	s_cbranch_execz .LBB0_6
; %bb.5:                                ;   in Loop: Header=BB0_2 Depth=1
	v_cvt_f32_u32_e32 v3, s28
	s_sub_i32 s30, 0, s28
	v_rcp_iflag_f32_e32 v3, v3
	v_mul_f32_e32 v3, 0x4f7ffffe, v3
	v_cvt_u32_f32_e32 v3, v3
	v_mul_lo_u32 v4, s30, v3
	v_mul_hi_u32 v4, v3, v4
	v_add_u32_e32 v3, v3, v4
	v_mul_hi_u32 v3, v9, v3
	v_mul_lo_u32 v4, v3, s28
	v_add_u32_e32 v6, 1, v3
	v_sub_u32_e32 v4, v9, v4
	v_subrev_u32_e32 v11, s28, v4
	v_cmp_le_u32_e32 vcc, s28, v4
	v_cndmask_b32_e32 v4, v4, v11, vcc
	v_cndmask_b32_e32 v3, v3, v6, vcc
	v_add_u32_e32 v6, 1, v3
	v_cmp_le_u32_e32 vcc, s28, v4
	v_cndmask_b32_e32 v3, v3, v6, vcc
	v_mov_b32_e32 v4, v5
.LBB0_6:                                ;   in Loop: Header=BB0_2 Depth=1
	s_or_b64 exec, exec, s[0:1]
	v_mul_lo_u32 v6, v4, s28
	v_mul_lo_u32 v13, v3, s29
	v_mad_u64_u32 v[11:12], s[0:1], v3, s28, 0
	s_load_dwordx2 s[0:1], s[22:23], 0x0
	s_load_dwordx2 s[28:29], s[6:7], 0x0
	v_add3_u32 v6, v12, v13, v6
	v_sub_co_u32_e32 v9, vcc, v9, v11
	v_subb_co_u32_e32 v6, vcc, v10, v6, vcc
	s_waitcnt lgkmcnt(0)
	v_mul_lo_u32 v10, s0, v6
	v_mul_lo_u32 v11, s1, v9
	v_mad_u64_u32 v[7:8], s[0:1], s0, v9, v[7:8]
	s_add_u32 s26, s26, 1
	s_addc_u32 s27, s27, 0
	s_add_u32 s6, s6, 8
	v_mul_lo_u32 v6, s28, v6
	v_mul_lo_u32 v12, s29, v9
	v_mad_u64_u32 v[1:2], s[0:1], s28, v9, v[1:2]
	v_add3_u32 v8, v11, v8, v10
	s_addc_u32 s7, s7, 0
	v_mov_b32_e32 v9, s14
	s_add_u32 s22, s22, 8
	v_mov_b32_e32 v10, s15
	s_addc_u32 s23, s23, 0
	v_cmp_ge_u64_e32 vcc, s[26:27], v[9:10]
	s_add_u32 s24, s24, 8
	v_add3_u32 v2, v12, v2, v6
	s_addc_u32 s25, s25, 0
	s_cbranch_vccnz .LBB0_9
; %bb.7:                                ;   in Loop: Header=BB0_2 Depth=1
	v_mov_b32_e32 v10, v4
	v_mov_b32_e32 v9, v3
	s_branch .LBB0_2
.LBB0_8:
	v_mov_b32_e32 v1, v7
	v_mov_b32_e32 v3, v9
	;; [unrolled: 1-line block ×4, first 2 shown]
.LBB0_9:
	s_load_dwordx2 s[0:1], s[4:5], 0x28
	s_lshl_b64 s[14:15], s[14:15], 3
	s_add_u32 s4, s18, s14
	s_addc_u32 s5, s19, s15
                                        ; implicit-def: $sgpr18
                                        ; implicit-def: $vgpr34
	s_waitcnt lgkmcnt(0)
	v_cmp_gt_u64_e32 vcc, s[0:1], v[3:4]
	v_cmp_le_u64_e64 s[0:1], s[0:1], v[3:4]
	s_and_saveexec_b64 s[6:7], s[0:1]
	s_xor_b64 s[0:1], exec, s[6:7]
; %bb.10:
	s_mov_b32 s6, 0x1767dcf
	v_mul_hi_u32 v5, v0, s6
	s_mov_b32 s18, 0
                                        ; implicit-def: $vgpr7_vgpr8
	v_mul_u32_u24_e32 v5, 0xaf, v5
	v_sub_u32_e32 v34, v0, v5
                                        ; implicit-def: $vgpr0
; %bb.11:
	s_or_saveexec_b64 s[6:7], s[0:1]
	s_load_dwordx2 s[4:5], s[4:5], 0x0
	v_mov_b32_e32 v33, s18
                                        ; implicit-def: $vgpr10
                                        ; implicit-def: $vgpr12
                                        ; implicit-def: $vgpr14
                                        ; implicit-def: $vgpr18
                                        ; implicit-def: $vgpr28
                                        ; implicit-def: $vgpr26
                                        ; implicit-def: $vgpr24
                                        ; implicit-def: $vgpr22
                                        ; implicit-def: $vgpr6
                                        ; implicit-def: $vgpr16
	s_xor_b64 exec, exec, s[6:7]
	s_cbranch_execz .LBB0_15
; %bb.12:
	s_add_u32 s0, s16, s14
	s_mov_b32 s14, 0x1767dcf
	v_mul_hi_u32 v5, v0, s14
	s_addc_u32 s1, s17, s15
	s_load_dwordx2 s[0:1], s[0:1], 0x0
	v_lshlrev_b64 v[7:8], 3, v[7:8]
	v_mul_u32_u24_e32 v5, 0xaf, v5
	v_sub_u32_e32 v34, v0, v5
	v_mad_u64_u32 v[5:6], s[14:15], s20, v34, 0
	s_waitcnt lgkmcnt(0)
	v_mul_lo_u32 v13, s1, v3
	v_mul_lo_u32 v14, s0, v4
	v_mad_u64_u32 v[9:10], s[0:1], s0, v3, 0
	v_mov_b32_e32 v0, v6
	v_mad_u64_u32 v[11:12], s[0:1], s21, v34, v[0:1]
	v_add3_u32 v10, v10, v14, v13
	v_lshlrev_b64 v[9:10], 3, v[9:10]
	v_mov_b32_e32 v6, v11
	v_mov_b32_e32 v0, s9
	v_add_co_u32_e64 v11, s[0:1], s8, v9
	v_add_u32_e32 v13, 0xf5, v34
	v_addc_co_u32_e64 v12, s[0:1], v0, v10, s[0:1]
	v_mad_u64_u32 v[9:10], s[0:1], s20, v13, 0
	v_add_co_u32_e64 v0, s[0:1], v11, v7
	v_addc_co_u32_e64 v7, s[0:1], v12, v8, s[0:1]
	v_mov_b32_e32 v8, v10
	v_mad_u64_u32 v[10:11], s[0:1], s21, v13, v[8:9]
	v_add_u32_e32 v13, 0x1ea, v34
	v_mad_u64_u32 v[11:12], s[0:1], s20, v13, 0
	v_lshlrev_b64 v[5:6], 3, v[5:6]
	v_lshlrev_b64 v[8:9], 3, v[9:10]
	v_add_co_u32_e64 v5, s[0:1], v0, v5
	v_mov_b32_e32 v10, v12
	v_addc_co_u32_e64 v6, s[0:1], v7, v6, s[0:1]
	v_mad_u64_u32 v[12:13], s[0:1], s21, v13, v[10:11]
	v_add_u32_e32 v15, 0x2df, v34
	v_mad_u64_u32 v[13:14], s[0:1], s20, v15, 0
	v_add_co_u32_e64 v17, s[0:1], v0, v8
	v_mov_b32_e32 v10, v14
	v_addc_co_u32_e64 v18, s[0:1], v7, v9, s[0:1]
	v_lshlrev_b64 v[8:9], 3, v[11:12]
	v_mad_u64_u32 v[10:11], s[0:1], s21, v15, v[10:11]
	v_add_co_u32_e64 v19, s[0:1], v0, v8
	v_mov_b32_e32 v14, v10
	v_add_u32_e32 v10, 0x3d4, v34
	v_addc_co_u32_e64 v20, s[0:1], v7, v9, s[0:1]
	v_mad_u64_u32 v[21:22], s[0:1], s20, v10, 0
	v_lshlrev_b64 v[8:9], 3, v[13:14]
                                        ; implicit-def: $vgpr25
                                        ; implicit-def: $vgpr27
	v_add_co_u32_e64 v23, s[0:1], v0, v8
	v_mov_b32_e32 v8, v22
	v_addc_co_u32_e64 v24, s[0:1], v7, v9, s[0:1]
	v_mad_u64_u32 v[8:9], s[0:1], s21, v10, v[8:9]
	global_load_dwordx2 v[9:10], v[5:6], off
	global_load_dwordx2 v[11:12], v[17:18], off
	;; [unrolled: 1-line block ×4, first 2 shown]
                                        ; implicit-def: $vgpr23
	v_mov_b32_e32 v22, v8
	v_lshlrev_b64 v[5:6], 3, v[21:22]
                                        ; implicit-def: $vgpr21
	v_add_co_u32_e64 v5, s[0:1], v0, v5
	v_addc_co_u32_e64 v6, s[0:1], v7, v6, s[0:1]
	global_load_dwordx2 v[17:18], v[5:6], off
	s_movk_i32 s0, 0x46
	v_cmp_gt_u32_e64 s[0:1], s0, v34
                                        ; implicit-def: $vgpr5
	s_and_saveexec_b64 s[8:9], s[0:1]
	s_cbranch_execz .LBB0_14
; %bb.13:
	v_add_u32_e32 v8, 0xaf, v34
	v_mad_u64_u32 v[5:6], s[0:1], s20, v8, 0
	v_add_u32_e32 v23, 0x1a4, v34
	v_mad_u64_u32 v[19:20], s[0:1], s20, v23, 0
	v_mad_u64_u32 v[21:22], s[0:1], s21, v8, v[6:7]
	v_mov_b32_e32 v8, v20
	v_mov_b32_e32 v6, v21
	s_waitcnt vmcnt(4)
	v_mad_u64_u32 v[20:21], s[0:1], s21, v23, v[8:9]
	v_add_u32_e32 v23, 0x299, v34
	v_mad_u64_u32 v[21:22], s[0:1], s20, v23, 0
	v_lshlrev_b64 v[5:6], 3, v[5:6]
	v_add_co_u32_e64 v27, s[0:1], v0, v5
	v_mov_b32_e32 v8, v22
	v_addc_co_u32_e64 v28, s[0:1], v7, v6, s[0:1]
	v_lshlrev_b64 v[5:6], 3, v[19:20]
	v_mad_u64_u32 v[19:20], s[0:1], s21, v23, v[8:9]
	v_add_u32_e32 v20, 0x38e, v34
	v_mad_u64_u32 v[23:24], s[0:1], s20, v20, 0
	v_add_co_u32_e64 v29, s[0:1], v0, v5
	v_mov_b32_e32 v8, v24
	v_addc_co_u32_e64 v30, s[0:1], v7, v6, s[0:1]
	v_mov_b32_e32 v22, v19
	v_mad_u64_u32 v[19:20], s[0:1], s21, v20, v[8:9]
	v_lshlrev_b64 v[5:6], 3, v[21:22]
	v_add_u32_e32 v8, 0x483, v34
	v_add_co_u32_e64 v31, s[0:1], v0, v5
	v_addc_co_u32_e64 v32, s[0:1], v7, v6, s[0:1]
	v_mov_b32_e32 v24, v19
	v_mad_u64_u32 v[19:20], s[0:1], s20, v8, 0
	v_lshlrev_b64 v[5:6], 3, v[23:24]
	v_add_co_u32_e64 v35, s[0:1], v0, v5
	v_mov_b32_e32 v5, v20
	v_addc_co_u32_e64 v36, s[0:1], v7, v6, s[0:1]
	v_mad_u64_u32 v[20:21], s[0:1], s21, v8, v[5:6]
	global_load_dwordx2 v[5:6], v[27:28], off
	global_load_dwordx2 v[21:22], v[29:30], off
	;; [unrolled: 1-line block ×4, first 2 shown]
	v_lshlrev_b64 v[19:20], 3, v[19:20]
	v_add_co_u32_e64 v19, s[0:1], v0, v19
	v_addc_co_u32_e64 v20, s[0:1], v7, v20, s[0:1]
	global_load_dwordx2 v[27:28], v[19:20], off
.LBB0_14:
	s_or_b64 exec, exec, s[8:9]
	v_mov_b32_e32 v33, v34
.LBB0_15:
	s_or_b64 exec, exec, s[6:7]
	s_waitcnt vmcnt(1)
	v_add_f32_e32 v7, v15, v13
	v_fma_f32 v19, -0.5, v7, v9
	v_add_f32_e32 v0, v9, v11
	s_waitcnt vmcnt(0)
	v_sub_f32_e32 v7, v12, v18
	v_mov_b32_e32 v8, v19
	v_add_f32_e32 v0, v0, v13
	v_fmac_f32_e32 v8, 0x3f737871, v7
	v_sub_f32_e32 v20, v14, v16
	v_sub_f32_e32 v29, v11, v13
	;; [unrolled: 1-line block ×3, first 2 shown]
	v_add_f32_e32 v0, v0, v15
	v_fmac_f32_e32 v8, 0x3f167918, v20
	v_add_f32_e32 v29, v29, v30
	v_fmac_f32_e32 v19, 0xbf737871, v7
	;; [unrolled: 2-line block ×3, first 2 shown]
	v_fmac_f32_e32 v19, 0xbf167918, v20
	v_mad_u32_u24 v37, v34, 20, 0
	v_fmac_f32_e32 v19, 0x3e9e377a, v29
	v_add_f32_e32 v29, v11, v17
	ds_write2_b32 v37, v0, v8 offset1:1
	v_sub_f32_e32 v0, v21, v23
	v_sub_f32_e32 v8, v27, v25
	v_fmac_f32_e32 v9, -0.5, v29
	v_sub_f32_e32 v29, v13, v11
	v_sub_f32_e32 v30, v15, v17
	v_add_f32_e32 v0, v8, v0
	v_add_f32_e32 v8, v25, v23
	;; [unrolled: 1-line block ×3, first 2 shown]
	v_mov_b32_e32 v30, v9
	v_fma_f32 v35, -0.5, v8, v5
	v_fmac_f32_e32 v30, 0xbf737871, v20
	v_fmac_f32_e32 v9, 0x3f737871, v20
	v_mov_b32_e32 v8, v35
	v_sub_f32_e32 v20, v22, v28
	v_fmac_f32_e32 v8, 0x3f737871, v20
	v_sub_f32_e32 v31, v24, v26
	v_fmac_f32_e32 v35, 0xbf737871, v20
	v_fmac_f32_e32 v8, 0x3f167918, v31
	;; [unrolled: 1-line block ×7, first 2 shown]
	v_add_f32_e32 v0, v27, v21
	v_fmac_f32_e32 v30, 0x3e9e377a, v29
	v_fmac_f32_e32 v9, 0x3e9e377a, v29
	v_add_f32_e32 v7, v21, v5
	v_fmac_f32_e32 v5, -0.5, v0
	v_sub_f32_e32 v0, v23, v21
	v_sub_f32_e32 v29, v25, v27
	v_add_f32_e32 v0, v29, v0
	v_mov_b32_e32 v29, v5
	v_add_f32_e32 v7, v23, v7
	v_fmac_f32_e32 v29, 0xbf737871, v31
	v_fmac_f32_e32 v5, 0x3f737871, v31
	v_add_f32_e32 v7, v25, v7
	v_fmac_f32_e32 v29, 0x3f167918, v20
	v_fmac_f32_e32 v5, 0xbf167918, v20
	s_movk_i32 s0, 0x46
	v_add_f32_e32 v7, v27, v7
	v_fmac_f32_e32 v29, 0x3e9e377a, v0
	v_fmac_f32_e32 v5, 0x3e9e377a, v0
	v_cmp_gt_u32_e64 s[0:1], s0, v34
	ds_write2_b32 v37, v30, v9 offset0:2 offset1:3
	ds_write_b32 v37, v19 offset:16
	s_and_saveexec_b64 s[6:7], s[0:1]
	s_cbranch_execz .LBB0_17
; %bb.16:
	v_add_u32_e32 v0, 0xdac, v37
	ds_write2_b32 v0, v7, v8 offset1:1
	v_add_u32_e32 v0, 0xdb4, v37
	ds_write2_b32 v0, v29, v5 offset1:1
	ds_write_b32 v37, v35 offset:3516
.LBB0_17:
	s_or_b64 exec, exec, s[6:7]
	v_lshlrev_b32_e32 v0, 4, v34
	v_sub_u32_e32 v9, v37, v0
	v_add_u32_e32 v30, 0x780, v9
	s_waitcnt lgkmcnt(0)
	s_barrier
	ds_read2_b32 v[19:20], v9 offset1:245
	ds_read2_b32 v[31:32], v30 offset0:10 offset1:255
	ds_read_b32 v36, v9 offset:3920
	v_sub_u32_e32 v0, 0, v0
	v_add_u32_e32 v0, v37, v0
	s_and_saveexec_b64 s[6:7], s[0:1]
	s_cbranch_execz .LBB0_19
; %bb.18:
	v_add_u32_e32 v5, 0x2a0, v0
	ds_read2_b32 v[7:8], v5 offset0:7 offset1:252
	v_add_u32_e32 v5, 0xa40, v0
	ds_read2_b32 v[29:30], v5 offset0:9 offset1:254
	ds_read_b32 v35, v0 offset:4620
	s_waitcnt lgkmcnt(1)
	v_mov_b32_e32 v5, v30
.LBB0_19:
	s_or_b64 exec, exec, s[6:7]
	v_add_f32_e32 v30, v16, v14
	v_fma_f32 v30, -0.5, v30, v10
	v_sub_f32_e32 v11, v11, v17
	v_mov_b32_e32 v17, v30
	v_fmac_f32_e32 v17, 0xbf737871, v11
	v_sub_f32_e32 v13, v13, v15
	v_sub_f32_e32 v15, v12, v14
	;; [unrolled: 1-line block ×3, first 2 shown]
	v_fmac_f32_e32 v30, 0x3f737871, v11
	v_fmac_f32_e32 v17, 0xbf167918, v13
	v_add_f32_e32 v15, v15, v38
	v_fmac_f32_e32 v30, 0x3f167918, v13
	v_fmac_f32_e32 v17, 0x3e9e377a, v15
	;; [unrolled: 1-line block ×3, first 2 shown]
	v_add_f32_e32 v15, v12, v18
	v_add_f32_e32 v9, v10, v12
	v_fmac_f32_e32 v10, -0.5, v15
	v_mov_b32_e32 v15, v10
	v_add_f32_e32 v9, v9, v14
	v_fmac_f32_e32 v15, 0x3f737871, v13
	v_sub_f32_e32 v12, v14, v12
	v_sub_f32_e32 v14, v16, v18
	v_fmac_f32_e32 v10, 0xbf737871, v13
	v_fmac_f32_e32 v15, 0xbf167918, v11
	v_add_f32_e32 v12, v12, v14
	v_fmac_f32_e32 v10, 0x3f167918, v11
	v_add_f32_e32 v9, v9, v16
	v_fmac_f32_e32 v15, 0x3e9e377a, v12
	v_fmac_f32_e32 v10, 0x3e9e377a, v12
	v_add_f32_e32 v12, v26, v24
	v_add_f32_e32 v9, v9, v18
	v_fma_f32 v18, -0.5, v12, v6
	v_sub_f32_e32 v14, v21, v27
	v_mov_b32_e32 v12, v18
	v_fmac_f32_e32 v12, 0xbf737871, v14
	v_sub_f32_e32 v16, v23, v25
	v_sub_f32_e32 v13, v22, v24
	;; [unrolled: 1-line block ×3, first 2 shown]
	v_fmac_f32_e32 v18, 0x3f737871, v14
	v_fmac_f32_e32 v12, 0xbf167918, v16
	v_add_f32_e32 v13, v21, v13
	v_fmac_f32_e32 v18, 0x3f167918, v16
	v_fmac_f32_e32 v12, 0x3e9e377a, v13
	;; [unrolled: 1-line block ×3, first 2 shown]
	v_add_f32_e32 v13, v28, v22
	v_add_f32_e32 v11, v22, v6
	v_fmac_f32_e32 v6, -0.5, v13
	v_mov_b32_e32 v13, v6
	v_add_f32_e32 v11, v24, v11
	v_fmac_f32_e32 v13, 0x3f737871, v16
	v_sub_f32_e32 v21, v24, v22
	v_sub_f32_e32 v22, v26, v28
	v_fmac_f32_e32 v6, 0xbf737871, v16
	v_add_f32_e32 v11, v26, v11
	v_fmac_f32_e32 v13, 0xbf167918, v14
	v_add_f32_e32 v21, v22, v21
	;; [unrolled: 2-line block ×3, first 2 shown]
	v_fmac_f32_e32 v13, 0x3e9e377a, v21
	v_fmac_f32_e32 v6, 0x3e9e377a, v21
	s_waitcnt lgkmcnt(0)
	s_barrier
	ds_write2_b32 v37, v9, v17 offset1:1
	ds_write2_b32 v37, v15, v10 offset0:2 offset1:3
	ds_write_b32 v37, v30 offset:16
	s_and_saveexec_b64 s[6:7], s[0:1]
	s_cbranch_execz .LBB0_21
; %bb.20:
	v_add_u32_e32 v9, 0xdac, v37
	ds_write2_b32 v9, v11, v12 offset1:1
	v_add_u32_e32 v9, 0xdb4, v37
	ds_write2_b32 v9, v13, v6 offset1:1
	ds_write_b32 v37, v18 offset:3516
.LBB0_21:
	s_or_b64 exec, exec, s[6:7]
	v_add_u32_e32 v14, 0x780, v0
	s_waitcnt lgkmcnt(0)
	s_barrier
	ds_read2_b32 v[9:10], v0 offset1:245
	ds_read2_b32 v[15:16], v14 offset0:10 offset1:255
	ds_read_b32 v22, v0 offset:3920
	s_and_saveexec_b64 s[6:7], s[0:1]
	s_cbranch_execz .LBB0_23
; %bb.22:
	v_add_u32_e32 v6, 0x2a0, v0
	ds_read2_b32 v[11:12], v6 offset0:7 offset1:252
	v_add_u32_e32 v6, 0xa40, v0
	ds_read2_b32 v[13:14], v6 offset0:9 offset1:254
	ds_read_b32 v18, v0 offset:4620
	s_waitcnt lgkmcnt(1)
	v_mov_b32_e32 v6, v14
.LBB0_23:
	s_or_b64 exec, exec, s[6:7]
	s_movk_i32 s8, 0xcd
	v_mul_lo_u16_sdwa v14, v34, s8 dst_sel:DWORD dst_unused:UNUSED_PAD src0_sel:BYTE_0 src1_sel:DWORD
	v_lshrrev_b16_e32 v28, 10, v14
	v_mul_lo_u16_e32 v14, 5, v28
	v_sub_u16_e32 v30, v34, v14
	v_mov_b32_e32 v14, 5
	v_lshlrev_b32_sdwa v14, v14, v30 dst_sel:DWORD dst_unused:UNUSED_PAD src0_sel:DWORD src1_sel:BYTE_0
	global_load_dwordx4 v[23:26], v14, s[12:13]
	global_load_dwordx4 v[37:40], v14, s[12:13] offset:16
	s_mov_b32 s6, 0xcccd
	s_waitcnt vmcnt(1) lgkmcnt(2)
	v_mul_f32_e32 v14, v10, v24
	v_mul_f32_e32 v17, v20, v24
	v_fma_f32 v21, v20, v23, -v14
	v_fmac_f32_e32 v17, v10, v23
	v_mul_f32_e32 v10, v31, v26
	v_add_u32_e32 v14, 0xaf, v34
	s_waitcnt lgkmcnt(1)
	v_mul_f32_e32 v24, v15, v26
	v_fmac_f32_e32 v10, v15, v25
	v_mul_u32_u24_sdwa v15, v14, s6 dst_sel:DWORD dst_unused:UNUSED_PAD src0_sel:WORD_0 src1_sel:DWORD
	v_lshrrev_b32_e32 v15, 18, v15
	v_mul_lo_u16_e32 v15, 5, v15
	v_sub_u16_e32 v44, v14, v15
	s_waitcnt vmcnt(0)
	v_mul_f32_e32 v15, v16, v38
	v_fma_f32 v20, v31, v25, -v24
	v_fma_f32 v24, v32, v37, -v15
	v_mul_f32_e32 v15, v32, v38
	v_lshlrev_b32_e32 v23, 5, v44
	v_fmac_f32_e32 v15, v16, v37
	s_waitcnt lgkmcnt(0)
	v_mul_f32_e32 v25, v22, v40
	v_mul_f32_e32 v16, v36, v40
	v_fma_f32 v27, v36, v39, -v25
	v_fmac_f32_e32 v16, v22, v39
	global_load_dwordx4 v[36:39], v23, s[12:13]
	global_load_dwordx4 v[40:43], v23, s[12:13] offset:16
	v_mov_b32_e32 v22, 2
	v_mul_u32_u24_e32 v25, 0x64, v28
	v_lshlrev_b32_sdwa v22, v22, v30 dst_sel:DWORD dst_unused:UNUSED_PAD src0_sel:DWORD src1_sel:BYTE_0
	v_add3_u32 v30, 0, v25, v22
	s_waitcnt vmcnt(0)
	s_barrier
	v_mul_f32_e32 v22, v13, v39
	v_fma_f32 v28, v29, v38, -v22
	v_mul_f32_e32 v22, v29, v39
	v_mul_f32_e32 v23, v8, v37
	v_fmac_f32_e32 v22, v13, v38
	v_mul_f32_e32 v13, v12, v37
	v_fmac_f32_e32 v23, v12, v36
	v_mul_f32_e32 v25, v5, v41
	v_mul_f32_e32 v12, v18, v43
	;; [unrolled: 1-line block ×3, first 2 shown]
	v_fma_f32 v29, v8, v36, -v13
	v_mul_f32_e32 v8, v6, v41
	v_fmac_f32_e32 v25, v6, v40
	v_fma_f32 v32, v35, v42, -v12
	v_fmac_f32_e32 v26, v18, v42
	v_add_f32_e32 v6, v20, v24
	v_sub_f32_e32 v13, v21, v20
	v_sub_f32_e32 v18, v27, v24
	v_add_f32_e32 v35, v21, v27
	v_fma_f32 v31, v5, v40, -v8
	v_add_f32_e32 v5, v19, v21
	v_sub_f32_e32 v36, v20, v21
	v_add_f32_e32 v13, v13, v18
	v_sub_f32_e32 v18, v24, v27
	v_fma_f32 v6, -0.5, v6, v19
	v_fmac_f32_e32 v19, -0.5, v35
	v_sub_f32_e32 v8, v17, v16
	v_sub_f32_e32 v12, v10, v15
	v_add_f32_e32 v18, v36, v18
	v_mov_b32_e32 v36, v19
	v_mov_b32_e32 v35, v6
	v_fmac_f32_e32 v6, 0xbf737871, v8
	v_fmac_f32_e32 v19, 0x3f737871, v12
	;; [unrolled: 1-line block ×3, first 2 shown]
	v_add_f32_e32 v5, v5, v20
	v_fmac_f32_e32 v35, 0x3f737871, v8
	v_fmac_f32_e32 v6, 0xbf167918, v12
	;; [unrolled: 1-line block ×4, first 2 shown]
	v_add_f32_e32 v5, v5, v24
	v_fmac_f32_e32 v35, 0x3f167918, v12
	v_fmac_f32_e32 v6, 0x3e9e377a, v13
	;; [unrolled: 1-line block ×4, first 2 shown]
	v_lshlrev_b32_e32 v18, 2, v44
	v_add_f32_e32 v5, v5, v27
	v_fmac_f32_e32 v35, 0x3e9e377a, v13
	ds_write_b32 v30, v6 offset:80
	ds_write2_b32 v30, v5, v35 offset1:5
	ds_write2_b32 v30, v36, v19 offset0:10 offset1:15
	s_and_saveexec_b64 s[6:7], s[0:1]
	s_cbranch_execz .LBB0_25
; %bb.24:
	v_sub_f32_e32 v5, v28, v29
	v_sub_f32_e32 v6, v31, v32
	v_add_f32_e32 v5, v5, v6
	v_add_f32_e32 v6, v29, v32
	v_fma_f32 v6, -0.5, v6, v7
	v_sub_f32_e32 v8, v22, v25
	v_mov_b32_e32 v12, v6
	v_fmac_f32_e32 v12, 0x3f737871, v8
	v_sub_f32_e32 v13, v23, v26
	v_fmac_f32_e32 v6, 0xbf737871, v8
	v_fmac_f32_e32 v12, 0xbf167918, v13
	;; [unrolled: 1-line block ×5, first 2 shown]
	v_sub_f32_e32 v5, v29, v28
	v_sub_f32_e32 v19, v32, v31
	v_add_f32_e32 v5, v5, v19
	v_add_f32_e32 v19, v28, v31
	v_fma_f32 v19, -0.5, v19, v7
	v_mov_b32_e32 v35, v19
	v_fmac_f32_e32 v35, 0xbf737871, v13
	v_fmac_f32_e32 v19, 0x3f737871, v13
	;; [unrolled: 1-line block ×6, first 2 shown]
	v_add_f32_e32 v5, v7, v29
	v_mul_lo_u16_sdwa v7, v14, s8 dst_sel:DWORD dst_unused:UNUSED_PAD src0_sel:BYTE_0 src1_sel:DWORD
	v_add_f32_e32 v5, v5, v28
	v_lshrrev_b16_e32 v7, 10, v7
	v_add_f32_e32 v5, v5, v31
	v_mul_u32_u24_e32 v7, 0x64, v7
	v_add_f32_e32 v5, v5, v32
	v_add3_u32 v7, 0, v7, v18
	ds_write2_b32 v7, v5, v19 offset1:5
	ds_write2_b32 v7, v6, v12 offset0:10 offset1:15
	ds_write_b32 v7, v35 offset:80
.LBB0_25:
	s_or_b64 exec, exec, s[6:7]
	v_add_f32_e32 v5, v9, v17
	v_add_f32_e32 v5, v5, v10
	;; [unrolled: 1-line block ×5, first 2 shown]
	v_fma_f32 v35, -0.5, v5, v9
	v_sub_f32_e32 v5, v21, v27
	v_mov_b32_e32 v21, v35
	v_fmac_f32_e32 v21, 0xbf737871, v5
	v_sub_f32_e32 v6, v20, v24
	v_sub_f32_e32 v7, v17, v10
	v_sub_f32_e32 v8, v16, v15
	v_fmac_f32_e32 v35, 0x3f737871, v5
	v_fmac_f32_e32 v21, 0xbf167918, v6
	v_add_f32_e32 v7, v7, v8
	v_fmac_f32_e32 v35, 0x3f167918, v6
	v_fmac_f32_e32 v21, 0x3e9e377a, v7
	;; [unrolled: 1-line block ×3, first 2 shown]
	v_add_f32_e32 v7, v17, v16
	v_fmac_f32_e32 v9, -0.5, v7
	v_mov_b32_e32 v20, v9
	v_fmac_f32_e32 v20, 0x3f737871, v6
	v_sub_f32_e32 v7, v10, v17
	v_sub_f32_e32 v8, v15, v16
	v_fmac_f32_e32 v9, 0xbf737871, v6
	v_fmac_f32_e32 v20, 0xbf167918, v5
	v_add_f32_e32 v7, v7, v8
	v_fmac_f32_e32 v9, 0x3f167918, v5
	s_waitcnt lgkmcnt(0)
	s_barrier
	v_lshl_add_u32 v10, v34, 2, 0
	ds_read_b32 v16, v0 offset:4200
	ds_read_b32 v15, v0
	ds_read_b32 v17, v10 offset:700
	v_add_u32_e32 v12, 0x500, v0
	v_add_u32_e32 v13, 0xa00, v0
	v_fmac_f32_e32 v20, 0x3e9e377a, v7
	v_fmac_f32_e32 v9, 0x3e9e377a, v7
	ds_read2_b32 v[7:8], v12 offset0:30 offset1:205
	ds_read2_b32 v[5:6], v13 offset0:60 offset1:235
	s_waitcnt lgkmcnt(0)
	s_barrier
	ds_write2_b32 v30, v19, v21 offset1:5
	ds_write2_b32 v30, v20, v9 offset0:10 offset1:15
	ds_write_b32 v30, v35 offset:80
	s_and_saveexec_b64 s[6:7], s[0:1]
	s_cbranch_execz .LBB0_27
; %bb.26:
	v_add_f32_e32 v19, v22, v25
	v_fma_f32 v19, -0.5, v19, v11
	v_sub_f32_e32 v20, v29, v32
	v_mov_b32_e32 v21, v19
	v_fmac_f32_e32 v21, 0xbf737871, v20
	v_sub_f32_e32 v24, v28, v31
	v_sub_f32_e32 v27, v23, v22
	;; [unrolled: 1-line block ×3, first 2 shown]
	v_fmac_f32_e32 v19, 0x3f737871, v20
	v_fmac_f32_e32 v21, 0xbf167918, v24
	v_add_f32_e32 v27, v27, v28
	v_fmac_f32_e32 v19, 0x3f167918, v24
	v_fmac_f32_e32 v21, 0x3e9e377a, v27
	v_fmac_f32_e32 v19, 0x3e9e377a, v27
	v_add_f32_e32 v27, v23, v26
	s_movk_i32 s0, 0xcd
	v_add_f32_e32 v9, v11, v23
	v_fmac_f32_e32 v11, -0.5, v27
	v_mul_lo_u16_sdwa v14, v14, s0 dst_sel:DWORD dst_unused:UNUSED_PAD src0_sel:BYTE_0 src1_sel:DWORD
	v_add_f32_e32 v9, v9, v22
	v_mov_b32_e32 v27, v11
	v_lshrrev_b16_e32 v14, 10, v14
	v_add_f32_e32 v9, v9, v25
	v_fmac_f32_e32 v27, 0x3f737871, v24
	v_sub_f32_e32 v22, v22, v23
	v_sub_f32_e32 v23, v25, v26
	v_fmac_f32_e32 v11, 0xbf737871, v24
	v_mul_u32_u24_e32 v14, 0x64, v14
	v_add_f32_e32 v9, v9, v26
	v_fmac_f32_e32 v27, 0xbf167918, v20
	v_add_f32_e32 v22, v22, v23
	v_fmac_f32_e32 v11, 0x3f167918, v20
	v_add3_u32 v14, 0, v14, v18
	v_fmac_f32_e32 v27, 0x3e9e377a, v22
	v_fmac_f32_e32 v11, 0x3e9e377a, v22
	ds_write2_b32 v14, v9, v21 offset1:5
	ds_write2_b32 v14, v27, v11 offset0:10 offset1:15
	ds_write_b32 v14, v19 offset:80
.LBB0_27:
	s_or_b64 exec, exec, s[6:7]
	v_mov_b32_e32 v9, 41
	v_mul_lo_u16_sdwa v9, v34, v9 dst_sel:DWORD dst_unused:UNUSED_PAD src0_sel:BYTE_0 src1_sel:DWORD
	v_lshrrev_b16_e32 v9, 10, v9
	v_mul_lo_u16_e32 v11, 25, v9
	v_sub_u16_e32 v11, v34, v11
	v_mov_b32_e32 v14, 6
	v_mul_u32_u24_sdwa v14, v11, v14 dst_sel:DWORD dst_unused:UNUSED_PAD src0_sel:BYTE_0 src1_sel:DWORD
	v_lshlrev_b32_e32 v14, 3, v14
	s_waitcnt lgkmcnt(0)
	s_barrier
	global_load_dwordx4 v[18:21], v14, s[12:13] offset:160
	global_load_dwordx4 v[22:25], v14, s[12:13] offset:176
	;; [unrolled: 1-line block ×3, first 2 shown]
	ds_read_b32 v14, v10 offset:700
	ds_read2_b32 v[30:31], v12 offset0:30 offset1:205
	ds_read2_b32 v[35:36], v13 offset0:60 offset1:235
	ds_read_b32 v32, v0
	ds_read_b32 v37, v0 offset:4200
	s_mov_b32 s1, 0x3f5ff5aa
	s_mov_b32 s0, 0x3f3bfb3b
	;; [unrolled: 1-line block ×4, first 2 shown]
	s_waitcnt vmcnt(0) lgkmcnt(0)
	s_barrier
	v_mul_f32_e32 v38, v14, v19
	v_mul_f32_e32 v19, v17, v19
	;; [unrolled: 1-line block ×3, first 2 shown]
	v_fma_f32 v17, v17, v18, -v38
	v_mul_f32_e32 v21, v7, v21
	v_fmac_f32_e32 v19, v14, v18
	v_mul_f32_e32 v14, v31, v23
	v_mul_f32_e32 v18, v8, v23
	v_fma_f32 v7, v7, v20, -v39
	v_fmac_f32_e32 v21, v30, v20
	v_mul_f32_e32 v20, v35, v25
	v_mul_f32_e32 v23, v5, v25
	;; [unrolled: 1-line block ×3, first 2 shown]
	v_fma_f32 v8, v8, v22, -v14
	v_mul_f32_e32 v14, v6, v27
	v_mul_f32_e32 v27, v37, v29
	v_fmac_f32_e32 v18, v31, v22
	v_mul_f32_e32 v22, v16, v29
	v_fma_f32 v6, v6, v26, -v25
	v_fmac_f32_e32 v14, v36, v26
	v_fma_f32 v16, v16, v28, -v27
	v_fmac_f32_e32 v22, v37, v28
	;; [unrolled: 2-line block ×3, first 2 shown]
	v_add_f32_e32 v20, v17, v16
	v_add_f32_e32 v24, v19, v22
	v_sub_f32_e32 v16, v17, v16
	v_sub_f32_e32 v17, v19, v22
	v_add_f32_e32 v19, v7, v6
	v_add_f32_e32 v22, v21, v14
	v_sub_f32_e32 v6, v7, v6
	v_sub_f32_e32 v7, v21, v14
	;; [unrolled: 4-line block ×4, first 2 shown]
	v_sub_f32_e32 v19, v14, v19
	v_add_f32_e32 v14, v14, v18
	v_add_f32_e32 v18, v21, v23
	v_sub_f32_e32 v26, v22, v24
	v_sub_f32_e32 v24, v24, v21
	v_sub_f32_e32 v22, v21, v22
	v_add_f32_e32 v27, v5, v6
	v_add_f32_e32 v28, v8, v7
	v_sub_f32_e32 v29, v5, v6
	v_sub_f32_e32 v30, v8, v7
	;; [unrolled: 5-line block ×3, first 2 shown]
	v_sub_f32_e32 v6, v6, v16
	v_add_f32_e32 v16, v27, v16
	v_add_f32_e32 v17, v28, v17
	v_mul_f32_e32 v20, 0x3f4a47b2, v20
	v_mul_f32_e32 v21, 0x3f4a47b2, v24
	;; [unrolled: 1-line block ×7, first 2 shown]
	v_mov_b32_e32 v32, v15
	v_mov_b32_e32 v35, v31
	v_mul_f32_e32 v29, 0x3f5ff5aa, v6
	v_fma_f32 v23, v25, s0, -v23
	v_fma_f32 v24, v26, s0, -v24
	;; [unrolled: 1-line block ×3, first 2 shown]
	v_fmac_f32_e32 v32, 0xbf955555, v14
	v_fmac_f32_e32 v35, 0xbf955555, v18
	;; [unrolled: 1-line block ×3, first 2 shown]
	v_fma_f32 v14, v26, s6, -v21
	v_fmac_f32_e32 v21, 0x3d64c772, v22
	v_fma_f32 v6, v6, s1, -v27
	v_fma_f32 v7, v7, s1, -v28
	v_fmac_f32_e32 v28, 0x3eae86e6, v8
	v_fma_f32 v8, v8, s7, -v30
	v_add_f32_e32 v18, v20, v32
	v_add_f32_e32 v19, v21, v35
	;; [unrolled: 1-line block ×5, first 2 shown]
	v_fmac_f32_e32 v6, 0x3ee1c552, v16
	v_fmac_f32_e32 v7, 0x3ee1c552, v17
	v_fmac_f32_e32 v8, 0x3ee1c552, v17
	v_fmac_f32_e32 v27, 0x3eae86e6, v5
	v_fma_f32 v5, v5, s7, -v29
	v_add_f32_e32 v23, v8, v22
	v_sub_f32_e32 v25, v20, v7
	v_add_f32_e32 v26, v6, v21
	v_add_f32_e32 v7, v7, v20
	v_sub_f32_e32 v20, v21, v6
	v_sub_f32_e32 v6, v22, v8
	v_mul_u32_u24_e32 v8, 0x2bc, v9
	v_mov_b32_e32 v9, 2
	v_add_f32_e32 v14, v14, v35
	v_fmac_f32_e32 v27, 0x3ee1c552, v16
	v_fmac_f32_e32 v28, 0x3ee1c552, v17
	;; [unrolled: 1-line block ×3, first 2 shown]
	v_lshlrev_b32_sdwa v9, v9, v11 dst_sel:DWORD dst_unused:UNUSED_PAD src0_sel:DWORD src1_sel:BYTE_0
	v_add_f32_e32 v16, v28, v18
	v_sub_f32_e32 v17, v19, v27
	v_sub_f32_e32 v24, v14, v5
	v_add_f32_e32 v21, v5, v14
	v_sub_f32_e32 v5, v18, v28
	v_add_f32_e32 v18, v27, v19
	v_add3_u32 v19, 0, v8, v9
	ds_write2_b32 v19, v15, v16 offset1:25
	ds_write2_b32 v19, v23, v25 offset0:50 offset1:75
	ds_write2_b32 v19, v7, v6 offset0:100 offset1:125
	ds_write_b32 v19, v5 offset:600
	s_waitcnt lgkmcnt(0)
	s_barrier
	ds_read_b32 v11, v0 offset:4200
	ds_read_b32 v9, v0
	ds_read_b32 v14, v10 offset:700
	ds_read2_b32 v[5:6], v12 offset0:30 offset1:205
	ds_read2_b32 v[7:8], v13 offset0:60 offset1:235
	s_waitcnt lgkmcnt(0)
	s_barrier
	ds_write2_b32 v19, v31, v17 offset1:25
	ds_write2_b32 v19, v24, v26 offset0:50 offset1:75
	ds_write2_b32 v19, v20, v21 offset0:100 offset1:125
	ds_write_b32 v19, v18 offset:600
	s_waitcnt lgkmcnt(0)
	s_barrier
	s_and_saveexec_b64 s[8:9], vcc
	s_cbranch_execz .LBB0_29
; %bb.28:
	v_mul_u32_u24_e32 v12, 6, v34
	v_lshlrev_b32_e32 v12, 3, v12
	global_load_dwordx4 v[15:18], v12, s[12:13] offset:1360
	global_load_dwordx4 v[19:22], v12, s[12:13] offset:1392
	;; [unrolled: 1-line block ×3, first 2 shown]
	v_add_u32_e32 v12, 0xa00, v0
	v_add_u32_e32 v27, 0x500, v0
	ds_read_b32 v10, v10 offset:700
	ds_read_b32 v31, v0 offset:4200
	ds_read_b32 v0, v0
	ds_read2_b32 v[12:13], v12 offset0:60 offset1:235
	ds_read2_b32 v[27:28], v27 offset0:30 offset1:205
	v_mul_lo_u32 v29, s5, v3
	v_mul_lo_u32 v30, s4, v4
	v_mad_u64_u32 v[3:4], s[4:5], s4, v3, 0
	v_add3_u32 v4, v4, v30, v29
	v_lshlrev_b64 v[3:4], 3, v[3:4]
	v_add_co_u32_e32 v3, vcc, s10, v3
	s_waitcnt vmcnt(2) lgkmcnt(4)
	v_mul_f32_e32 v29, v10, v16
	s_waitcnt vmcnt(1) lgkmcnt(3)
	v_mul_f32_e32 v30, v31, v22
	;; [unrolled: 2-line block ×3, first 2 shown]
	s_waitcnt lgkmcnt(0)
	v_mul_f32_e32 v34, v28, v24
	v_mul_f32_e32 v35, v27, v18
	;; [unrolled: 1-line block ×9, first 2 shown]
	v_fma_f32 v7, v7, v25, -v32
	v_fma_f32 v6, v6, v23, -v34
	;; [unrolled: 1-line block ×4, first 2 shown]
	v_fmac_f32_e32 v22, v21, v31
	v_fmac_f32_e32 v16, v15, v10
	;; [unrolled: 1-line block ×6, first 2 shown]
	v_fma_f32 v14, v14, v15, -v29
	v_fma_f32 v11, v11, v21, -v30
	v_sub_f32_e32 v12, v7, v6
	v_sub_f32_e32 v13, v5, v8
	v_add_f32_e32 v15, v16, v22
	v_add_f32_e32 v17, v26, v24
	v_add_f32_e32 v19, v18, v20
	v_sub_f32_e32 v10, v14, v11
	v_add_f32_e32 v11, v14, v11
	v_add_f32_e32 v6, v7, v6
	;; [unrolled: 1-line block ×3, first 2 shown]
	v_sub_f32_e32 v16, v16, v22
	v_sub_f32_e32 v5, v26, v24
	v_sub_f32_e32 v18, v18, v20
	v_sub_f32_e32 v7, v12, v13
	v_sub_f32_e32 v21, v17, v19
	v_add_f32_e32 v22, v15, v19
	v_add_f32_e32 v8, v12, v13
	v_sub_f32_e32 v24, v6, v14
	v_add_f32_e32 v25, v11, v14
	v_sub_f32_e32 v27, v5, v18
	v_mul_f32_e32 v29, 0xbf08b237, v7
	v_mul_f32_e32 v21, 0x3d64c772, v21
	v_add_f32_e32 v7, v17, v22
	v_sub_f32_e32 v20, v10, v12
	v_sub_f32_e32 v12, v15, v17
	;; [unrolled: 1-line block ×3, first 2 shown]
	v_add_f32_e32 v30, v10, v8
	v_mul_f32_e32 v22, 0x3d64c772, v24
	v_add_f32_e32 v8, v6, v25
	v_mul_f32_e32 v24, 0xbf08b237, v27
	v_mov_b32_e32 v27, v21
	v_add_f32_e32 v6, v0, v7
	v_sub_f32_e32 v13, v13, v10
	v_sub_f32_e32 v26, v16, v5
	v_add_f32_e32 v28, v5, v18
	v_mul_f32_e32 v31, 0x3f4a47b2, v12
	v_mov_b32_e32 v25, v29
	v_mov_b32_e32 v0, v22
	v_add_f32_e32 v5, v9, v8
	v_fmac_f32_e32 v27, 0x3f4a47b2, v12
	v_mov_b32_e32 v12, v6
	v_mul_f32_e32 v9, 0x3f5ff5aa, v13
	v_sub_f32_e32 v15, v19, v15
	v_mul_f32_e32 v17, 0x3f4a47b2, v23
	v_fmac_f32_e32 v25, 0x3eae86e6, v20
	v_fmac_f32_e32 v0, 0x3f4a47b2, v23
	v_mov_b32_e32 v23, v5
	v_fmac_f32_e32 v12, 0xbf955555, v7
	v_fma_f32 v20, v20, s7, -v9
	v_fma_f32 v9, v15, s6, -v31
	v_sub_f32_e32 v11, v14, v11
	v_fmac_f32_e32 v23, 0xbf955555, v8
	v_add_f32_e32 v19, v9, v12
	v_fma_f32 v9, v11, s6, -v17
	v_sub_f32_e32 v14, v18, v16
	v_mov_b32_e32 v32, v24
	v_add_f32_e32 v17, v9, v23
	v_mul_f32_e32 v9, 0x3f5ff5aa, v14
	v_fmac_f32_e32 v32, 0x3eae86e6, v26
	v_add_f32_e32 v34, v0, v23
	v_add_f32_e32 v0, v16, v28
	v_fma_f32 v26, v26, s7, -v9
	v_fma_f32 v18, v14, s1, -v24
	v_fmac_f32_e32 v32, 0x3ee1c552, v0
	v_fmac_f32_e32 v26, 0x3ee1c552, v0
	v_fma_f32 v15, v15, s0, -v21
	v_fma_f32 v16, v13, s1, -v29
	v_fmac_f32_e32 v18, 0x3ee1c552, v0
	v_fma_f32 v0, v11, s0, -v22
	v_mad_u64_u32 v[13:14], s[0:1], s2, v33, 0
	v_add_f32_e32 v15, v15, v12
	v_fmac_f32_e32 v16, 0x3ee1c552, v30
	v_add_f32_e32 v0, v0, v23
	v_add_f32_e32 v27, v27, v12
	v_fmac_f32_e32 v20, 0x3ee1c552, v30
	v_sub_f32_e32 v12, v15, v16
	v_add_f32_e32 v11, v18, v0
	v_add_f32_e32 v16, v16, v15
	v_sub_f32_e32 v15, v0, v18
	v_mov_b32_e32 v0, v14
	v_add_f32_e32 v10, v20, v19
	v_sub_f32_e32 v18, v19, v20
	v_mad_u64_u32 v[19:20], s[0:1], s3, v33, v[0:1]
	v_mov_b32_e32 v0, s11
	v_addc_co_u32_e32 v4, vcc, v0, v4, vcc
	v_lshlrev_b64 v[0:1], 3, v[1:2]
	v_mov_b32_e32 v14, v19
	v_add_co_u32_e32 v19, vcc, v3, v0
	v_addc_co_u32_e32 v22, vcc, v4, v1, vcc
	v_add_u32_e32 v4, 0xaf, v33
	v_mad_u64_u32 v[2:3], s[0:1], s2, v4, 0
	v_lshlrev_b64 v[0:1], 3, v[13:14]
	v_fmac_f32_e32 v25, 0x3ee1c552, v30
	v_mad_u64_u32 v[3:4], s[0:1], s3, v4, v[3:4]
	v_add_u32_e32 v4, 0x15e, v33
	v_mad_u64_u32 v[13:14], s[0:1], s2, v4, 0
	v_add_co_u32_e32 v0, vcc, v19, v0
	v_addc_co_u32_e32 v1, vcc, v22, v1, vcc
	global_store_dwordx2 v[0:1], v[5:6], off
	v_lshlrev_b64 v[0:1], 3, v[2:3]
	v_mov_b32_e32 v2, v14
	v_mad_u64_u32 v[2:3], s[0:1], s3, v4, v[2:3]
	v_add_u32_e32 v4, 0x20d, v33
	v_add_co_u32_e32 v0, vcc, v19, v0
	v_mov_b32_e32 v14, v2
	v_mad_u64_u32 v[2:3], s[0:1], s2, v4, 0
	v_sub_f32_e32 v21, v27, v25
	v_add_f32_e32 v20, v32, v34
	v_addc_co_u32_e32 v1, vcc, v22, v1, vcc
	v_mad_u64_u32 v[3:4], s[0:1], s3, v4, v[3:4]
	v_add_u32_e32 v6, 0x2bc, v33
	global_store_dwordx2 v[0:1], v[20:21], off
	v_lshlrev_b64 v[0:1], 3, v[13:14]
	v_mad_u64_u32 v[4:5], s[0:1], s2, v6, 0
	v_add_co_u32_e32 v0, vcc, v19, v0
	v_sub_f32_e32 v9, v17, v26
	v_add_f32_e32 v17, v26, v17
	v_addc_co_u32_e32 v1, vcc, v22, v1, vcc
	global_store_dwordx2 v[0:1], v[17:18], off
	v_lshlrev_b64 v[0:1], 3, v[2:3]
	v_mov_b32_e32 v2, v5
	v_mad_u64_u32 v[2:3], s[0:1], s3, v6, v[2:3]
	v_add_co_u32_e32 v0, vcc, v19, v0
	v_addc_co_u32_e32 v1, vcc, v22, v1, vcc
	v_mov_b32_e32 v5, v2
	global_store_dwordx2 v[0:1], v[15:16], off
	v_lshlrev_b64 v[0:1], 3, v[4:5]
	v_add_u32_e32 v4, 0x36b, v33
	v_mad_u64_u32 v[2:3], s[0:1], s2, v4, 0
	v_add_u32_e32 v6, 0x41a, v33
	v_add_co_u32_e32 v0, vcc, v19, v0
	v_mad_u64_u32 v[3:4], s[0:1], s3, v4, v[3:4]
	v_mad_u64_u32 v[4:5], s[0:1], s2, v6, 0
	v_addc_co_u32_e32 v1, vcc, v22, v1, vcc
	global_store_dwordx2 v[0:1], v[11:12], off
	v_lshlrev_b64 v[0:1], 3, v[2:3]
	v_mov_b32_e32 v2, v5
	v_mad_u64_u32 v[2:3], s[0:1], s3, v6, v[2:3]
	v_add_co_u32_e32 v0, vcc, v19, v0
	v_addc_co_u32_e32 v1, vcc, v22, v1, vcc
	v_mov_b32_e32 v5, v2
	global_store_dwordx2 v[0:1], v[9:10], off
	v_lshlrev_b64 v[0:1], 3, v[4:5]
	v_add_f32_e32 v8, v25, v27
	v_add_co_u32_e32 v0, vcc, v19, v0
	v_sub_f32_e32 v7, v34, v32
	v_addc_co_u32_e32 v1, vcc, v22, v1, vcc
	global_store_dwordx2 v[0:1], v[7:8], off
.LBB0_29:
	s_endpgm
	.section	.rodata,"a",@progbits
	.p2align	6, 0x0
	.amdhsa_kernel fft_rtc_fwd_len1225_factors_5_5_7_7_wgs_175_tpt_175_halfLds_sp_op_CI_CI_sbrr_dirReg
		.amdhsa_group_segment_fixed_size 0
		.amdhsa_private_segment_fixed_size 0
		.amdhsa_kernarg_size 104
		.amdhsa_user_sgpr_count 6
		.amdhsa_user_sgpr_private_segment_buffer 1
		.amdhsa_user_sgpr_dispatch_ptr 0
		.amdhsa_user_sgpr_queue_ptr 0
		.amdhsa_user_sgpr_kernarg_segment_ptr 1
		.amdhsa_user_sgpr_dispatch_id 0
		.amdhsa_user_sgpr_flat_scratch_init 0
		.amdhsa_user_sgpr_private_segment_size 0
		.amdhsa_uses_dynamic_stack 0
		.amdhsa_system_sgpr_private_segment_wavefront_offset 0
		.amdhsa_system_sgpr_workgroup_id_x 1
		.amdhsa_system_sgpr_workgroup_id_y 0
		.amdhsa_system_sgpr_workgroup_id_z 0
		.amdhsa_system_sgpr_workgroup_info 0
		.amdhsa_system_vgpr_workitem_id 0
		.amdhsa_next_free_vgpr 45
		.amdhsa_next_free_sgpr 32
		.amdhsa_reserve_vcc 1
		.amdhsa_reserve_flat_scratch 0
		.amdhsa_float_round_mode_32 0
		.amdhsa_float_round_mode_16_64 0
		.amdhsa_float_denorm_mode_32 3
		.amdhsa_float_denorm_mode_16_64 3
		.amdhsa_dx10_clamp 1
		.amdhsa_ieee_mode 1
		.amdhsa_fp16_overflow 0
		.amdhsa_exception_fp_ieee_invalid_op 0
		.amdhsa_exception_fp_denorm_src 0
		.amdhsa_exception_fp_ieee_div_zero 0
		.amdhsa_exception_fp_ieee_overflow 0
		.amdhsa_exception_fp_ieee_underflow 0
		.amdhsa_exception_fp_ieee_inexact 0
		.amdhsa_exception_int_div_zero 0
	.end_amdhsa_kernel
	.text
.Lfunc_end0:
	.size	fft_rtc_fwd_len1225_factors_5_5_7_7_wgs_175_tpt_175_halfLds_sp_op_CI_CI_sbrr_dirReg, .Lfunc_end0-fft_rtc_fwd_len1225_factors_5_5_7_7_wgs_175_tpt_175_halfLds_sp_op_CI_CI_sbrr_dirReg
                                        ; -- End function
	.section	.AMDGPU.csdata,"",@progbits
; Kernel info:
; codeLenInByte = 6336
; NumSgprs: 36
; NumVgprs: 45
; ScratchSize: 0
; MemoryBound: 0
; FloatMode: 240
; IeeeMode: 1
; LDSByteSize: 0 bytes/workgroup (compile time only)
; SGPRBlocks: 4
; VGPRBlocks: 11
; NumSGPRsForWavesPerEU: 36
; NumVGPRsForWavesPerEU: 45
; Occupancy: 5
; WaveLimiterHint : 1
; COMPUTE_PGM_RSRC2:SCRATCH_EN: 0
; COMPUTE_PGM_RSRC2:USER_SGPR: 6
; COMPUTE_PGM_RSRC2:TRAP_HANDLER: 0
; COMPUTE_PGM_RSRC2:TGID_X_EN: 1
; COMPUTE_PGM_RSRC2:TGID_Y_EN: 0
; COMPUTE_PGM_RSRC2:TGID_Z_EN: 0
; COMPUTE_PGM_RSRC2:TIDIG_COMP_CNT: 0
	.type	__hip_cuid_7fba09ab3c8003c8,@object ; @__hip_cuid_7fba09ab3c8003c8
	.section	.bss,"aw",@nobits
	.globl	__hip_cuid_7fba09ab3c8003c8
__hip_cuid_7fba09ab3c8003c8:
	.byte	0                               ; 0x0
	.size	__hip_cuid_7fba09ab3c8003c8, 1

	.ident	"AMD clang version 19.0.0git (https://github.com/RadeonOpenCompute/llvm-project roc-6.4.0 25133 c7fe45cf4b819c5991fe208aaa96edf142730f1d)"
	.section	".note.GNU-stack","",@progbits
	.addrsig
	.addrsig_sym __hip_cuid_7fba09ab3c8003c8
	.amdgpu_metadata
---
amdhsa.kernels:
  - .args:
      - .actual_access:  read_only
        .address_space:  global
        .offset:         0
        .size:           8
        .value_kind:     global_buffer
      - .offset:         8
        .size:           8
        .value_kind:     by_value
      - .actual_access:  read_only
        .address_space:  global
        .offset:         16
        .size:           8
        .value_kind:     global_buffer
      - .actual_access:  read_only
        .address_space:  global
        .offset:         24
        .size:           8
        .value_kind:     global_buffer
      - .actual_access:  read_only
        .address_space:  global
        .offset:         32
        .size:           8
        .value_kind:     global_buffer
      - .offset:         40
        .size:           8
        .value_kind:     by_value
      - .actual_access:  read_only
        .address_space:  global
        .offset:         48
        .size:           8
        .value_kind:     global_buffer
      - .actual_access:  read_only
        .address_space:  global
        .offset:         56
        .size:           8
        .value_kind:     global_buffer
      - .offset:         64
        .size:           4
        .value_kind:     by_value
      - .actual_access:  read_only
        .address_space:  global
        .offset:         72
        .size:           8
        .value_kind:     global_buffer
      - .actual_access:  read_only
        .address_space:  global
        .offset:         80
        .size:           8
        .value_kind:     global_buffer
      - .actual_access:  read_only
        .address_space:  global
        .offset:         88
        .size:           8
        .value_kind:     global_buffer
      - .actual_access:  write_only
        .address_space:  global
        .offset:         96
        .size:           8
        .value_kind:     global_buffer
    .group_segment_fixed_size: 0
    .kernarg_segment_align: 8
    .kernarg_segment_size: 104
    .language:       OpenCL C
    .language_version:
      - 2
      - 0
    .max_flat_workgroup_size: 175
    .name:           fft_rtc_fwd_len1225_factors_5_5_7_7_wgs_175_tpt_175_halfLds_sp_op_CI_CI_sbrr_dirReg
    .private_segment_fixed_size: 0
    .sgpr_count:     36
    .sgpr_spill_count: 0
    .symbol:         fft_rtc_fwd_len1225_factors_5_5_7_7_wgs_175_tpt_175_halfLds_sp_op_CI_CI_sbrr_dirReg.kd
    .uniform_work_group_size: 1
    .uses_dynamic_stack: false
    .vgpr_count:     45
    .vgpr_spill_count: 0
    .wavefront_size: 64
amdhsa.target:   amdgcn-amd-amdhsa--gfx906
amdhsa.version:
  - 1
  - 2
...

	.end_amdgpu_metadata
